;; amdgpu-corpus repo=ROCm/rocFFT kind=compiled arch=gfx1030 opt=O3
	.text
	.amdgcn_target "amdgcn-amd-amdhsa--gfx1030"
	.amdhsa_code_object_version 6
	.protected	fft_rtc_back_len2400_factors_4_10_10_6_wgs_240_tpt_240_halfLds_dp_ip_CI_unitstride_sbrr_C2R_dirReg ; -- Begin function fft_rtc_back_len2400_factors_4_10_10_6_wgs_240_tpt_240_halfLds_dp_ip_CI_unitstride_sbrr_C2R_dirReg
	.globl	fft_rtc_back_len2400_factors_4_10_10_6_wgs_240_tpt_240_halfLds_dp_ip_CI_unitstride_sbrr_C2R_dirReg
	.p2align	8
	.type	fft_rtc_back_len2400_factors_4_10_10_6_wgs_240_tpt_240_halfLds_dp_ip_CI_unitstride_sbrr_C2R_dirReg,@function
fft_rtc_back_len2400_factors_4_10_10_6_wgs_240_tpt_240_halfLds_dp_ip_CI_unitstride_sbrr_C2R_dirReg: ; @fft_rtc_back_len2400_factors_4_10_10_6_wgs_240_tpt_240_halfLds_dp_ip_CI_unitstride_sbrr_C2R_dirReg
; %bb.0:
	s_clause 0x2
	s_load_dwordx4 s[8:11], s[4:5], 0x0
	s_load_dwordx2 s[2:3], s[4:5], 0x50
	s_load_dwordx2 s[12:13], s[4:5], 0x18
	v_mul_u32_u24_e32 v1, 0x112, v0
	v_mov_b32_e32 v3, 0
	v_add_nc_u32_sdwa v5, s6, v1 dst_sel:DWORD dst_unused:UNUSED_PAD src0_sel:DWORD src1_sel:WORD_1
	v_mov_b32_e32 v1, 0
	v_mov_b32_e32 v6, v3
	v_mov_b32_e32 v2, 0
	s_waitcnt lgkmcnt(0)
	v_cmp_lt_u64_e64 s0, s[10:11], 2
	s_and_b32 vcc_lo, exec_lo, s0
	s_cbranch_vccnz .LBB0_8
; %bb.1:
	s_load_dwordx2 s[0:1], s[4:5], 0x10
	v_mov_b32_e32 v1, 0
	s_add_u32 s6, s12, 8
	v_mov_b32_e32 v2, 0
	s_addc_u32 s7, s13, 0
	s_mov_b64 s[16:17], 1
	s_waitcnt lgkmcnt(0)
	s_add_u32 s14, s0, 8
	s_addc_u32 s15, s1, 0
.LBB0_2:                                ; =>This Inner Loop Header: Depth=1
	s_load_dwordx2 s[18:19], s[14:15], 0x0
                                        ; implicit-def: $vgpr7_vgpr8
	s_mov_b32 s0, exec_lo
	s_waitcnt lgkmcnt(0)
	v_or_b32_e32 v4, s19, v6
	v_cmpx_ne_u64_e32 0, v[3:4]
	s_xor_b32 s1, exec_lo, s0
	s_cbranch_execz .LBB0_4
; %bb.3:                                ;   in Loop: Header=BB0_2 Depth=1
	v_cvt_f32_u32_e32 v4, s18
	v_cvt_f32_u32_e32 v7, s19
	s_sub_u32 s0, 0, s18
	s_subb_u32 s20, 0, s19
	v_fmac_f32_e32 v4, 0x4f800000, v7
	v_rcp_f32_e32 v4, v4
	v_mul_f32_e32 v4, 0x5f7ffffc, v4
	v_mul_f32_e32 v7, 0x2f800000, v4
	v_trunc_f32_e32 v7, v7
	v_fmac_f32_e32 v4, 0xcf800000, v7
	v_cvt_u32_f32_e32 v7, v7
	v_cvt_u32_f32_e32 v4, v4
	v_mul_lo_u32 v8, s0, v7
	v_mul_hi_u32 v9, s0, v4
	v_mul_lo_u32 v10, s20, v4
	v_add_nc_u32_e32 v8, v9, v8
	v_mul_lo_u32 v9, s0, v4
	v_add_nc_u32_e32 v8, v8, v10
	v_mul_hi_u32 v10, v4, v9
	v_mul_lo_u32 v11, v4, v8
	v_mul_hi_u32 v12, v4, v8
	v_mul_hi_u32 v13, v7, v9
	v_mul_lo_u32 v9, v7, v9
	v_mul_hi_u32 v14, v7, v8
	v_mul_lo_u32 v8, v7, v8
	v_add_co_u32 v10, vcc_lo, v10, v11
	v_add_co_ci_u32_e32 v11, vcc_lo, 0, v12, vcc_lo
	v_add_co_u32 v9, vcc_lo, v10, v9
	v_add_co_ci_u32_e32 v9, vcc_lo, v11, v13, vcc_lo
	v_add_co_ci_u32_e32 v10, vcc_lo, 0, v14, vcc_lo
	v_add_co_u32 v8, vcc_lo, v9, v8
	v_add_co_ci_u32_e32 v9, vcc_lo, 0, v10, vcc_lo
	v_add_co_u32 v4, vcc_lo, v4, v8
	v_add_co_ci_u32_e32 v7, vcc_lo, v7, v9, vcc_lo
	v_mul_hi_u32 v8, s0, v4
	v_mul_lo_u32 v10, s20, v4
	v_mul_lo_u32 v9, s0, v7
	v_add_nc_u32_e32 v8, v8, v9
	v_mul_lo_u32 v9, s0, v4
	v_add_nc_u32_e32 v8, v8, v10
	v_mul_hi_u32 v10, v4, v9
	v_mul_lo_u32 v11, v4, v8
	v_mul_hi_u32 v12, v4, v8
	v_mul_hi_u32 v13, v7, v9
	v_mul_lo_u32 v9, v7, v9
	v_mul_hi_u32 v14, v7, v8
	v_mul_lo_u32 v8, v7, v8
	v_add_co_u32 v10, vcc_lo, v10, v11
	v_add_co_ci_u32_e32 v11, vcc_lo, 0, v12, vcc_lo
	v_add_co_u32 v9, vcc_lo, v10, v9
	v_add_co_ci_u32_e32 v9, vcc_lo, v11, v13, vcc_lo
	v_add_co_ci_u32_e32 v10, vcc_lo, 0, v14, vcc_lo
	v_add_co_u32 v8, vcc_lo, v9, v8
	v_add_co_ci_u32_e32 v9, vcc_lo, 0, v10, vcc_lo
	v_add_co_u32 v4, vcc_lo, v4, v8
	v_add_co_ci_u32_e32 v11, vcc_lo, v7, v9, vcc_lo
	v_mul_hi_u32 v13, v5, v4
	v_mad_u64_u32 v[9:10], null, v6, v4, 0
	v_mad_u64_u32 v[7:8], null, v5, v11, 0
	;; [unrolled: 1-line block ×3, first 2 shown]
	v_add_co_u32 v4, vcc_lo, v13, v7
	v_add_co_ci_u32_e32 v7, vcc_lo, 0, v8, vcc_lo
	v_add_co_u32 v4, vcc_lo, v4, v9
	v_add_co_ci_u32_e32 v4, vcc_lo, v7, v10, vcc_lo
	v_add_co_ci_u32_e32 v7, vcc_lo, 0, v12, vcc_lo
	v_add_co_u32 v4, vcc_lo, v4, v11
	v_add_co_ci_u32_e32 v9, vcc_lo, 0, v7, vcc_lo
	v_mul_lo_u32 v10, s19, v4
	v_mad_u64_u32 v[7:8], null, s18, v4, 0
	v_mul_lo_u32 v11, s18, v9
	v_sub_co_u32 v7, vcc_lo, v5, v7
	v_add3_u32 v8, v8, v11, v10
	v_sub_nc_u32_e32 v10, v6, v8
	v_subrev_co_ci_u32_e64 v10, s0, s19, v10, vcc_lo
	v_add_co_u32 v11, s0, v4, 2
	v_add_co_ci_u32_e64 v12, s0, 0, v9, s0
	v_sub_co_u32 v13, s0, v7, s18
	v_sub_co_ci_u32_e32 v8, vcc_lo, v6, v8, vcc_lo
	v_subrev_co_ci_u32_e64 v10, s0, 0, v10, s0
	v_cmp_le_u32_e32 vcc_lo, s18, v13
	v_cmp_eq_u32_e64 s0, s19, v8
	v_cndmask_b32_e64 v13, 0, -1, vcc_lo
	v_cmp_le_u32_e32 vcc_lo, s19, v10
	v_cndmask_b32_e64 v14, 0, -1, vcc_lo
	v_cmp_le_u32_e32 vcc_lo, s18, v7
	;; [unrolled: 2-line block ×3, first 2 shown]
	v_cndmask_b32_e64 v15, 0, -1, vcc_lo
	v_cmp_eq_u32_e32 vcc_lo, s19, v10
	v_cndmask_b32_e64 v7, v15, v7, s0
	v_cndmask_b32_e32 v10, v14, v13, vcc_lo
	v_add_co_u32 v13, vcc_lo, v4, 1
	v_add_co_ci_u32_e32 v14, vcc_lo, 0, v9, vcc_lo
	v_cmp_ne_u32_e32 vcc_lo, 0, v10
	v_cndmask_b32_e32 v8, v14, v12, vcc_lo
	v_cndmask_b32_e32 v10, v13, v11, vcc_lo
	v_cmp_ne_u32_e32 vcc_lo, 0, v7
	v_cndmask_b32_e32 v8, v9, v8, vcc_lo
	v_cndmask_b32_e32 v7, v4, v10, vcc_lo
.LBB0_4:                                ;   in Loop: Header=BB0_2 Depth=1
	s_andn2_saveexec_b32 s0, s1
	s_cbranch_execz .LBB0_6
; %bb.5:                                ;   in Loop: Header=BB0_2 Depth=1
	v_cvt_f32_u32_e32 v4, s18
	s_sub_i32 s1, 0, s18
	v_rcp_iflag_f32_e32 v4, v4
	v_mul_f32_e32 v4, 0x4f7ffffe, v4
	v_cvt_u32_f32_e32 v4, v4
	v_mul_lo_u32 v7, s1, v4
	v_mul_hi_u32 v7, v4, v7
	v_add_nc_u32_e32 v4, v4, v7
	v_mul_hi_u32 v4, v5, v4
	v_mul_lo_u32 v7, v4, s18
	v_add_nc_u32_e32 v8, 1, v4
	v_sub_nc_u32_e32 v7, v5, v7
	v_subrev_nc_u32_e32 v9, s18, v7
	v_cmp_le_u32_e32 vcc_lo, s18, v7
	v_cndmask_b32_e32 v7, v7, v9, vcc_lo
	v_cndmask_b32_e32 v4, v4, v8, vcc_lo
	v_cmp_le_u32_e32 vcc_lo, s18, v7
	v_add_nc_u32_e32 v8, 1, v4
	v_cndmask_b32_e32 v7, v4, v8, vcc_lo
	v_mov_b32_e32 v8, v3
.LBB0_6:                                ;   in Loop: Header=BB0_2 Depth=1
	s_or_b32 exec_lo, exec_lo, s0
	s_load_dwordx2 s[0:1], s[6:7], 0x0
	v_mul_lo_u32 v4, v8, s18
	v_mul_lo_u32 v11, v7, s19
	v_mad_u64_u32 v[9:10], null, v7, s18, 0
	s_add_u32 s16, s16, 1
	s_addc_u32 s17, s17, 0
	s_add_u32 s6, s6, 8
	s_addc_u32 s7, s7, 0
	;; [unrolled: 2-line block ×3, first 2 shown]
	v_add3_u32 v4, v10, v11, v4
	v_sub_co_u32 v5, vcc_lo, v5, v9
	v_sub_co_ci_u32_e32 v4, vcc_lo, v6, v4, vcc_lo
	s_waitcnt lgkmcnt(0)
	v_mul_lo_u32 v6, s1, v5
	v_mul_lo_u32 v4, s0, v4
	v_mad_u64_u32 v[1:2], null, s0, v5, v[1:2]
	v_cmp_ge_u64_e64 s0, s[16:17], s[10:11]
	s_and_b32 vcc_lo, exec_lo, s0
	v_add3_u32 v2, v6, v2, v4
	s_cbranch_vccnz .LBB0_9
; %bb.7:                                ;   in Loop: Header=BB0_2 Depth=1
	v_mov_b32_e32 v5, v7
	v_mov_b32_e32 v6, v8
	s_branch .LBB0_2
.LBB0_8:
	v_mov_b32_e32 v8, v6
	v_mov_b32_e32 v7, v5
.LBB0_9:
	s_lshl_b64 s[0:1], s[10:11], 3
	v_mul_hi_u32 v5, 0x1111112, v0
	s_add_u32 s0, s12, s0
	s_addc_u32 s1, s13, s1
	s_load_dwordx2 s[0:1], s[0:1], 0x0
	s_load_dwordx2 s[4:5], s[4:5], 0x20
	s_waitcnt lgkmcnt(0)
	v_mul_lo_u32 v3, s0, v8
	v_mul_lo_u32 v4, s1, v7
	v_mad_u64_u32 v[1:2], null, s0, v7, v[1:2]
	v_cmp_gt_u64_e32 vcc_lo, s[4:5], v[7:8]
	v_add3_u32 v2, v4, v2, v3
	v_mul_u32_u24_e32 v3, 0xf0, v5
	v_lshlrev_b64 v[50:51], 4, v[1:2]
	v_sub_nc_u32_e32 v48, v0, v3
	s_and_saveexec_b32 s1, vcc_lo
	s_cbranch_execz .LBB0_13
; %bb.10:
	v_mov_b32_e32 v49, 0
	v_add_co_u32 v0, s0, s2, v50
	v_add_co_ci_u32_e64 v1, s0, s3, v51, s0
	v_lshlrev_b64 v[2:3], 4, v[48:49]
	v_lshl_add_u32 v42, v48, 4, 0
	s_mov_b32 s4, exec_lo
	v_add_co_u32 v18, s0, v0, v2
	v_add_co_ci_u32_e64 v19, s0, v1, v3, s0
	v_add_co_u32 v6, s0, 0x800, v18
	v_add_co_ci_u32_e64 v7, s0, 0, v19, s0
	;; [unrolled: 2-line block ×10, first 2 shown]
	s_clause 0x9
	global_load_dwordx4 v[2:5], v[18:19], off
	global_load_dwordx4 v[6:9], v[6:7], off offset:1792
	global_load_dwordx4 v[10:13], v[10:11], off offset:1536
	;; [unrolled: 1-line block ×7, first 2 shown]
	global_load_dwordx4 v[34:37], v[34:35], off
	global_load_dwordx4 v[38:41], v[38:39], off offset:1792
	s_waitcnt vmcnt(9)
	ds_write_b128 v42, v[2:5]
	s_waitcnt vmcnt(8)
	ds_write_b128 v42, v[6:9] offset:3840
	s_waitcnt vmcnt(7)
	ds_write_b128 v42, v[10:13] offset:7680
	;; [unrolled: 2-line block ×9, first 2 shown]
	v_cmpx_eq_u32_e32 0xef, v48
	s_cbranch_execz .LBB0_12
; %bb.11:
	v_add_co_u32 v0, s0, 0x9000, v0
	v_add_co_ci_u32_e64 v1, s0, 0, v1, s0
	v_mov_b32_e32 v48, 0xef
	global_load_dwordx4 v[0:3], v[0:1], off offset:1536
	s_waitcnt vmcnt(0)
	ds_write_b128 v49, v[0:3] offset:38400
.LBB0_12:
	s_or_b32 exec_lo, exec_lo, s4
.LBB0_13:
	s_or_b32 exec_lo, exec_lo, s1
	v_lshlrev_b32_e32 v0, 4, v48
	s_waitcnt lgkmcnt(0)
	s_barrier
	buffer_gl0_inv
	s_add_u32 s1, s8, 0x95c0
	v_add_nc_u32_e32 v54, 0, v0
	v_sub_nc_u32_e32 v10, 0, v0
	s_addc_u32 s4, s9, 0
	s_mov_b32 s5, exec_lo
	ds_read_b64 v[4:5], v54
	ds_read_b64 v[6:7], v10 offset:38400
	s_waitcnt lgkmcnt(0)
	v_add_f64 v[0:1], v[4:5], v[6:7]
	v_add_f64 v[2:3], v[4:5], -v[6:7]
	v_cmpx_ne_u32_e32 0, v48
	s_xor_b32 s5, exec_lo, s5
	s_cbranch_execz .LBB0_15
; %bb.14:
	v_mov_b32_e32 v49, 0
	v_add_f64 v[8:9], v[4:5], v[6:7]
	v_add_f64 v[15:16], v[4:5], -v[6:7]
	v_lshlrev_b64 v[0:1], 4, v[48:49]
	v_add_co_u32 v0, s0, s1, v0
	v_add_co_ci_u32_e64 v1, s0, s4, v1, s0
	global_load_dwordx4 v[11:14], v[0:1], off
	ds_read_b64 v[0:1], v10 offset:38408
	ds_read_b64 v[2:3], v54 offset:8
	s_waitcnt lgkmcnt(0)
	v_add_f64 v[4:5], v[0:1], v[2:3]
	v_add_f64 v[0:1], v[2:3], -v[0:1]
	s_waitcnt vmcnt(0)
	v_fma_f64 v[2:3], v[15:16], v[13:14], v[8:9]
	v_fma_f64 v[6:7], -v[15:16], v[13:14], v[8:9]
	v_fma_f64 v[8:9], v[4:5], v[13:14], -v[0:1]
	v_fma_f64 v[13:14], v[4:5], v[13:14], v[0:1]
	v_fma_f64 v[0:1], -v[4:5], v[11:12], v[2:3]
	v_fma_f64 v[4:5], v[4:5], v[11:12], v[6:7]
	v_fma_f64 v[6:7], v[15:16], v[11:12], v[8:9]
	;; [unrolled: 1-line block ×3, first 2 shown]
	ds_write_b128 v10, v[4:7] offset:38400
.LBB0_15:
	s_andn2_saveexec_b32 s0, s5
	s_cbranch_execz .LBB0_17
; %bb.16:
	v_mov_b32_e32 v8, 0
	ds_read_b128 v[4:7], v8 offset:19200
	s_waitcnt lgkmcnt(0)
	v_add_f64 v[4:5], v[4:5], v[4:5]
	v_mul_f64 v[6:7], v[6:7], -2.0
	ds_write_b128 v8, v[4:7] offset:19200
.LBB0_17:
	s_or_b32 exec_lo, exec_lo, s0
	v_add_nc_u32_e32 v52, 0xf0, v48
	v_mov_b32_e32 v53, 0
	v_add_nc_u32_e32 v8, 0x1e0, v48
	v_add_nc_u32_e32 v15, 0x2d0, v48
	;; [unrolled: 1-line block ×3, first 2 shown]
	ds_write_b128 v54, v[0:3]
	v_lshlrev_b64 v[4:5], 4, v[52:53]
	v_mov_b32_e32 v9, v53
	v_mov_b32_e32 v16, v53
	;; [unrolled: 1-line block ×3, first 2 shown]
	v_lshlrev_b64 v[11:12], 4, v[8:9]
	v_add_co_u32 v4, s0, s1, v4
	v_add_co_ci_u32_e64 v5, s0, s4, v5, s0
	v_lshlrev_b64 v[15:16], 4, v[15:16]
	v_add_co_u32 v11, s0, s1, v11
	global_load_dwordx4 v[4:7], v[4:5], off
	v_add_co_ci_u32_e64 v12, s0, s4, v12, s0
	v_add_co_u32 v15, s0, s1, v15
	v_add_co_ci_u32_e64 v16, s0, s4, v16, s0
	global_load_dwordx4 v[11:14], v[11:12], off
	v_lshlrev_b64 v[19:20], 4, v[19:20]
	global_load_dwordx4 v[15:18], v[15:16], off
	v_add_co_u32 v23, s0, s1, v19
	v_add_co_ci_u32_e64 v24, s0, s4, v20, s0
	ds_read_b128 v[0:3], v54 offset:3840
	ds_read_b128 v[19:22], v10 offset:34560
	s_mov_b32 s1, exec_lo
	global_load_dwordx4 v[23:26], v[23:24], off
	s_waitcnt lgkmcnt(0)
	v_add_f64 v[27:28], v[0:1], v[19:20]
	v_add_f64 v[29:30], v[21:22], v[2:3]
	v_add_f64 v[31:32], v[0:1], -v[19:20]
	v_add_f64 v[0:1], v[2:3], -v[21:22]
	s_waitcnt vmcnt(3)
	v_fma_f64 v[2:3], v[31:32], v[6:7], v[27:28]
	v_fma_f64 v[19:20], v[29:30], v[6:7], v[0:1]
	v_fma_f64 v[21:22], -v[31:32], v[6:7], v[27:28]
	v_fma_f64 v[6:7], v[29:30], v[6:7], -v[0:1]
	v_fma_f64 v[0:1], -v[29:30], v[4:5], v[2:3]
	v_fma_f64 v[2:3], v[31:32], v[4:5], v[19:20]
	v_fma_f64 v[19:20], v[29:30], v[4:5], v[21:22]
	v_fma_f64 v[21:22], v[31:32], v[4:5], v[6:7]
	ds_write_b128 v54, v[0:3] offset:3840
	ds_write_b128 v10, v[19:22] offset:34560
	ds_read_b128 v[0:3], v54 offset:7680
	ds_read_b128 v[4:7], v10 offset:30720
	s_waitcnt lgkmcnt(0)
	v_add_f64 v[19:20], v[0:1], v[4:5]
	v_add_f64 v[21:22], v[6:7], v[2:3]
	v_add_f64 v[27:28], v[0:1], -v[4:5]
	v_add_f64 v[0:1], v[2:3], -v[6:7]
	s_waitcnt vmcnt(2)
	v_fma_f64 v[2:3], v[27:28], v[13:14], v[19:20]
	v_fma_f64 v[4:5], v[21:22], v[13:14], v[0:1]
	v_fma_f64 v[6:7], -v[27:28], v[13:14], v[19:20]
	v_fma_f64 v[13:14], v[21:22], v[13:14], -v[0:1]
	v_fma_f64 v[0:1], -v[21:22], v[11:12], v[2:3]
	v_fma_f64 v[2:3], v[27:28], v[11:12], v[4:5]
	v_fma_f64 v[4:5], v[21:22], v[11:12], v[6:7]
	v_fma_f64 v[6:7], v[27:28], v[11:12], v[13:14]
	ds_write_b128 v54, v[0:3] offset:7680
	ds_write_b128 v10, v[4:7] offset:30720
	ds_read_b128 v[0:3], v54 offset:11520
	ds_read_b128 v[4:7], v10 offset:26880
	;; [unrolled: 18-line block ×3, first 2 shown]
	s_waitcnt lgkmcnt(0)
	v_add_f64 v[11:12], v[0:1], v[4:5]
	v_add_f64 v[13:14], v[6:7], v[2:3]
	v_add_f64 v[15:16], v[0:1], -v[4:5]
	v_add_f64 v[0:1], v[2:3], -v[6:7]
	s_waitcnt vmcnt(0)
	v_fma_f64 v[2:3], v[15:16], v[25:26], v[11:12]
	v_fma_f64 v[4:5], v[13:14], v[25:26], v[0:1]
	v_fma_f64 v[6:7], -v[15:16], v[25:26], v[11:12]
	v_fma_f64 v[11:12], v[13:14], v[25:26], -v[0:1]
	v_fma_f64 v[0:1], -v[13:14], v[23:24], v[2:3]
	v_fma_f64 v[2:3], v[15:16], v[23:24], v[4:5]
	v_fma_f64 v[4:5], v[13:14], v[23:24], v[6:7]
	v_fma_f64 v[6:7], v[15:16], v[23:24], v[11:12]
	ds_write_b128 v54, v[0:3] offset:15360
	ds_write_b128 v10, v[4:7] offset:23040
	s_waitcnt lgkmcnt(0)
	s_barrier
	buffer_gl0_inv
	s_barrier
	buffer_gl0_inv
	ds_read_b128 v[0:3], v54
	ds_read_b128 v[4:7], v54 offset:19200
	ds_read_b128 v[9:12], v54 offset:28800
	;; [unrolled: 1-line block ×11, first 2 shown]
	s_waitcnt lgkmcnt(0)
	s_barrier
	buffer_gl0_inv
	v_add_f64 v[45:46], v[0:1], -v[4:5]
	v_add_f64 v[6:7], v[2:3], -v[6:7]
	;; [unrolled: 1-line block ×12, first 2 shown]
	v_fma_f64 v[0:1], v[0:1], 2.0, -v[45:46]
	v_fma_f64 v[2:3], v[2:3], 2.0, -v[6:7]
	;; [unrolled: 1-line block ×8, first 2 shown]
	v_add_f64 v[17:18], v[45:46], v[59:60]
	v_add_f64 v[19:20], v[6:7], -v[4:5]
	v_add_f64 v[21:22], v[61:62], v[21:22]
	v_fma_f64 v[59:60], v[37:38], 2.0, -v[69:70]
	v_fma_f64 v[71:72], v[39:40], 2.0, -v[41:42]
	v_add_f64 v[23:24], v[63:64], -v[23:24]
	v_add_f64 v[4:5], v[9:10], v[41:42]
	v_add_f64 v[25:26], v[0:1], -v[13:14]
	v_add_f64 v[27:28], v[2:3], -v[15:16]
	v_fma_f64 v[13:14], v[33:34], 2.0, -v[9:10]
	v_fma_f64 v[15:16], v[35:36], 2.0, -v[11:12]
	v_add_f64 v[29:30], v[65:66], -v[29:30]
	v_add_f64 v[31:32], v[67:68], -v[31:32]
	v_fma_f64 v[33:34], v[45:46], 2.0, -v[17:18]
	v_fma_f64 v[35:36], v[6:7], 2.0, -v[19:20]
	v_add_f64 v[6:7], v[11:12], -v[69:70]
	v_fma_f64 v[37:38], v[61:62], 2.0, -v[21:22]
	v_mad_u32_u24 v45, v48, 48, v54
	v_fma_f64 v[39:40], v[63:64], 2.0, -v[23:24]
	v_lshl_add_u32 v46, v52, 6, 0
	v_fma_f64 v[41:42], v[0:1], 2.0, -v[25:26]
	v_fma_f64 v[43:44], v[2:3], 2.0, -v[27:28]
	v_add_f64 v[0:1], v[13:14], -v[59:60]
	v_add_f64 v[2:3], v[15:16], -v[71:72]
	v_fma_f64 v[55:56], v[65:66], 2.0, -v[29:30]
	v_fma_f64 v[57:58], v[67:68], 2.0, -v[31:32]
	ds_write_b128 v45, v[17:20] offset:48
	ds_write_b128 v45, v[33:36] offset:16
	;; [unrolled: 1-line block ×3, first 2 shown]
	ds_write_b128 v45, v[41:44]
	ds_write_b128 v46, v[55:58]
	ds_write_b128 v46, v[37:40] offset:16
	ds_write_b128 v46, v[29:32] offset:32
	;; [unrolled: 1-line block ×3, first 2 shown]
	v_cmpx_gt_u32_e32 0x78, v48
	s_cbranch_execz .LBB0_19
; %bb.18:
	v_fma_f64 v[15:16], v[15:16], 2.0, -v[2:3]
	v_fma_f64 v[13:14], v[13:14], 2.0, -v[0:1]
	;; [unrolled: 1-line block ×4, first 2 shown]
	v_lshl_add_u32 v8, v8, 6, 0
	ds_write_b128 v8, v[0:3] offset:32
	ds_write_b128 v8, v[13:16]
	ds_write_b128 v8, v[9:12] offset:16
	ds_write_b128 v8, v[4:7] offset:48
.LBB0_19:
	s_or_b32 exec_lo, exec_lo, s1
	v_and_b32_e32 v34, 3, v48
	s_waitcnt lgkmcnt(0)
	s_barrier
	buffer_gl0_inv
	s_mov_b32 s12, 0x134454ff
	v_mul_u32_u24_e32 v8, 9, v34
	s_mov_b32 s13, 0xbfee6f0e
	s_mov_b32 s1, 0x3fee6f0e
	;; [unrolled: 1-line block ×4, first 2 shown]
	v_lshlrev_b32_e32 v12, 4, v8
	s_mov_b32 s7, 0xbfe2cf23
	s_mov_b32 s5, 0x3fe2cf23
	;; [unrolled: 1-line block ×4, first 2 shown]
	s_clause 0x8
	global_load_dwordx4 v[8:11], v12, s[8:9] offset:16
	global_load_dwordx4 v[14:17], v12, s[8:9] offset:48
	;; [unrolled: 1-line block ×8, first 2 shown]
	global_load_dwordx4 v[59:62], v12, s[8:9]
	ds_read_b128 v[24:27], v54 offset:7680
	ds_read_b128 v[63:66], v54 offset:15360
	;; [unrolled: 1-line block ×9, first 2 shown]
	ds_read_b128 v[95:98], v54
	s_mov_b32 s11, 0x3fd3c6ef
	s_mov_b32 s14, 0x9b97f4a8
	;; [unrolled: 1-line block ×7, first 2 shown]
	v_and_b32_e32 v47, 0xff, v48
	v_mov_b32_e32 v53, 9
	s_waitcnt vmcnt(0) lgkmcnt(0)
	s_barrier
	buffer_gl0_inv
	v_mul_lo_u16 v47, 0xcd, v47
	v_mul_f64 v[12:13], v[26:27], v[10:11]
	v_mul_f64 v[10:11], v[24:25], v[10:11]
	;; [unrolled: 1-line block ×10, first 2 shown]
	v_fma_f64 v[16:17], v[24:25], v[8:9], v[12:13]
	v_fma_f64 v[12:13], v[26:27], v[8:9], -v[10:11]
	v_mul_f64 v[26:27], v[75:76], v[37:38]
	v_mul_f64 v[24:25], v[71:72], v[30:31]
	v_fma_f64 v[18:19], v[63:64], v[14:15], v[18:19]
	v_fma_f64 v[14:15], v[65:66], v[14:15], -v[32:33]
	v_mul_f64 v[32:33], v[89:90], v[57:58]
	v_mul_f64 v[57:58], v[87:88], v[57:58]
	;; [unrolled: 1-line block ×4, first 2 shown]
	v_fma_f64 v[8:9], v[67:68], v[20:21], v[99:100]
	v_fma_f64 v[10:11], v[69:70], v[20:21], -v[22:23]
	v_mul_f64 v[65:66], v[91:92], v[61:62]
	v_fma_f64 v[30:31], v[81:82], v[39:40], -v[101:102]
	v_fma_f64 v[22:23], v[85:86], v[43:44], -v[103:104]
	v_mul_f64 v[61:62], v[93:94], v[61:62]
	v_add_f64 v[69:70], v[95:96], v[16:17]
	v_add_f64 v[81:82], v[97:98], v[12:13]
	v_fma_f64 v[20:21], v[77:78], v[35:36], -v[26:27]
	v_fma_f64 v[67:68], v[73:74], v[28:29], -v[24:25]
	v_fma_f64 v[24:25], v[87:88], v[55:56], v[32:33]
	v_fma_f64 v[26:27], v[89:90], v[55:56], -v[57:58]
	v_fma_f64 v[55:56], v[71:72], v[28:29], v[63:64]
	v_fma_f64 v[35:36], v[75:76], v[35:36], v[37:38]
	;; [unrolled: 1-line block ×4, first 2 shown]
	v_fma_f64 v[37:38], v[93:94], v[59:60], -v[65:66]
	v_add_f64 v[45:46], v[18:19], v[8:9]
	v_add_f64 v[71:72], v[16:17], -v[18:19]
	v_fma_f64 v[43:44], v[91:92], v[59:60], v[61:62]
	v_add_f64 v[59:60], v[14:15], v[10:11]
	v_add_f64 v[75:76], v[18:19], -v[16:17]
	v_add_f64 v[99:100], v[22:23], -v[30:31]
	;; [unrolled: 1-line block ×3, first 2 shown]
	v_add_f64 v[39:40], v[20:21], v[30:31]
	v_add_f64 v[41:42], v[67:68], v[22:23]
	v_add_f64 v[93:94], v[67:68], -v[20:21]
	v_add_f64 v[101:102], v[20:21], -v[67:68]
	v_add_f64 v[57:58], v[16:17], v[24:25]
	v_add_f64 v[61:62], v[12:13], v[26:27]
	v_add_f64 v[73:74], v[24:25], -v[8:9]
	v_add_f64 v[83:84], v[8:9], -v[24:25]
	v_add_f64 v[63:64], v[35:36], v[32:33]
	v_add_f64 v[79:80], v[55:56], -v[28:29]
	v_add_f64 v[65:66], v[55:56], v[28:29]
	v_add_f64 v[77:78], v[35:36], -v[32:33]
	v_add_f64 v[85:86], v[55:56], -v[35:36]
	;; [unrolled: 1-line block ×5, first 2 shown]
	v_fma_f64 v[45:46], v[45:46], -0.5, v[95:96]
	v_add_f64 v[55:56], v[43:44], v[55:56]
	v_fma_f64 v[59:60], v[59:60], -0.5, v[97:98]
	v_add_f64 v[16:17], v[16:17], -v[24:25]
	v_fma_f64 v[39:40], v[39:40], -0.5, v[37:38]
	v_fma_f64 v[41:42], v[41:42], -0.5, v[37:38]
	v_add_f64 v[37:38], v[37:38], v[67:68]
	v_add_f64 v[67:68], v[67:68], -v[22:23]
	v_fma_f64 v[57:58], v[57:58], -0.5, v[95:96]
	v_fma_f64 v[61:62], v[61:62], -0.5, v[97:98]
	v_add_f64 v[71:72], v[71:72], v[73:74]
	v_add_f64 v[73:74], v[75:76], v[83:84]
	v_fma_f64 v[63:64], v[63:64], -0.5, v[43:44]
	v_add_f64 v[75:76], v[18:19], -v[8:9]
	v_fma_f64 v[43:44], v[65:66], -0.5, v[43:44]
	v_add_f64 v[65:66], v[20:21], -v[30:31]
	v_add_f64 v[18:19], v[69:70], v[18:19]
	v_add_f64 v[83:84], v[85:86], v[87:88]
	v_add_f64 v[85:86], v[12:13], -v[26:27]
	v_add_f64 v[87:88], v[89:90], v[91:92]
	v_add_f64 v[89:90], v[14:15], -v[10:11]
	v_add_f64 v[91:92], v[93:94], v[99:100]
	v_add_f64 v[93:94], v[101:102], v[103:104]
	v_add_f64 v[101:102], v[12:13], -v[14:15]
	v_add_f64 v[12:13], v[14:15], -v[12:13]
	v_add_f64 v[14:15], v[81:82], v[14:15]
	v_fma_f64 v[95:96], v[79:80], s[0:1], v[39:40]
	v_fma_f64 v[97:98], v[77:78], s[12:13], v[41:42]
	;; [unrolled: 1-line block ×4, first 2 shown]
	v_add_f64 v[35:36], v[55:56], v[35:36]
	v_add_f64 v[20:21], v[37:38], v[20:21]
	v_fma_f64 v[81:82], v[16:17], s[0:1], v[59:60]
	v_fma_f64 v[59:60], v[16:17], s[12:13], v[59:60]
	;; [unrolled: 1-line block ×6, first 2 shown]
	v_add_f64 v[8:9], v[18:19], v[8:9]
	v_fma_f64 v[37:38], v[85:86], s[12:13], v[45:46]
	v_fma_f64 v[45:46], v[85:86], s[0:1], v[45:46]
	v_fma_f64 v[55:56], v[89:90], s[0:1], v[57:58]
	v_fma_f64 v[57:58], v[89:90], s[12:13], v[57:58]
	v_fma_f64 v[95:96], v[77:78], s[4:5], v[95:96]
	v_fma_f64 v[97:98], v[79:80], s[4:5], v[97:98]
	v_fma_f64 v[41:42], v[79:80], s[6:7], v[41:42]
	v_fma_f64 v[39:40], v[77:78], s[6:7], v[39:40]
	v_add_f64 v[79:80], v[26:27], -v[10:11]
	v_add_f64 v[77:78], v[10:11], -v[26:27]
	v_add_f64 v[10:11], v[14:15], v[10:11]
	v_add_f64 v[14:15], v[35:36], v[32:33]
	v_fma_f64 v[69:70], v[65:66], s[6:7], v[69:70]
	v_fma_f64 v[63:64], v[65:66], s[4:5], v[63:64]
	v_add_f64 v[18:19], v[20:21], v[30:31]
	v_fma_f64 v[99:100], v[67:68], s[6:7], v[99:100]
	v_fma_f64 v[43:44], v[67:68], s[4:5], v[43:44]
	v_fma_f64 v[67:68], v[75:76], s[12:13], v[61:62]
	v_fma_f64 v[61:62], v[75:76], s[0:1], v[61:62]
	v_fma_f64 v[20:21], v[89:90], s[6:7], v[37:38]
	v_fma_f64 v[30:31], v[89:90], s[4:5], v[45:46]
	v_fma_f64 v[32:33], v[85:86], s[6:7], v[55:56]
	v_fma_f64 v[35:36], v[85:86], s[4:5], v[57:58]
	v_fma_f64 v[37:38], v[75:76], s[4:5], v[81:82]
	v_fma_f64 v[45:46], v[75:76], s[6:7], v[59:60]
	v_add_f64 v[81:82], v[8:9], v[24:25]
	v_fma_f64 v[95:96], v[91:92], s[10:11], v[95:96]
	v_fma_f64 v[97:98], v[93:94], s[10:11], v[97:98]
	;; [unrolled: 1-line block ×4, first 2 shown]
	v_add_f64 v[79:80], v[101:102], v[79:80]
	v_add_f64 v[12:13], v[12:13], v[77:78]
	;; [unrolled: 1-line block ×4, first 2 shown]
	v_fma_f64 v[57:58], v[83:84], s[10:11], v[69:70]
	v_lshrrev_b32_e32 v8, 2, v48
	v_add_f64 v[18:19], v[18:19], v[22:23]
	v_fma_f64 v[59:60], v[87:88], s[10:11], v[99:100]
	v_fma_f64 v[43:44], v[87:88], s[10:11], v[43:44]
	;; [unrolled: 1-line block ×9, first 2 shown]
	v_lshrrev_b16 v24, 13, v47
	v_mul_u32_u24_e32 v47, 40, v8
	v_mul_f64 v[65:66], v[95:96], s[6:7]
	v_mul_f64 v[75:76], v[95:96], s[14:15]
	;; [unrolled: 1-line block ×8, first 2 shown]
	v_fma_f64 v[28:29], v[79:80], s[10:11], v[37:38]
	v_fma_f64 v[79:80], v[79:80], s[10:11], v[45:46]
	v_add_f64 v[8:9], v[81:82], v[14:15]
	v_add_f64 v[10:11], v[25:26], v[18:19]
	v_mul_lo_u16 v49, v24, 40
	v_or_b32_e32 v34, v47, v34
	v_lshl_add_u32 v34, v34, 4, 0
	v_fma_f64 v[30:31], v[57:58], s[14:15], v[65:66]
	v_fma_f64 v[32:33], v[57:58], s[4:5], v[75:76]
	;; [unrolled: 1-line block ×10, first 2 shown]
	v_add_f64 v[12:13], v[81:82], -v[14:15]
	v_add_f64 v[14:15], v[25:26], -v[18:19]
	v_sub_nc_u16 v25, v48, v49
	v_mov_b32_e32 v49, 0x1900
	v_mul_u32_u24_sdwa v47, v25, v53 dst_sel:DWORD dst_unused:UNUSED_PAD src0_sel:BYTE_0 src1_sel:DWORD
	v_mov_b32_e32 v53, 4
	v_mul_u32_u24_sdwa v24, v24, v49 dst_sel:DWORD dst_unused:UNUSED_PAD src0_sel:WORD_0 src1_sel:DWORD
	v_add_f64 v[16:17], v[22:23], v[30:31]
	v_add_f64 v[18:19], v[28:29], v[32:33]
	;; [unrolled: 1-line block ×3, first 2 shown]
	v_add_f64 v[30:31], v[22:23], -v[30:31]
	v_add_f64 v[22:23], v[57:58], v[59:60]
	v_add_f64 v[26:27], v[73:74], v[65:66]
	v_add_f64 v[32:33], v[28:29], -v[32:33]
	v_add_f64 v[35:36], v[71:72], v[55:56]
	v_add_f64 v[28:29], v[67:68], v[63:64]
	;; [unrolled: 1-line block ×3, first 2 shown]
	v_add_f64 v[39:40], v[83:84], -v[45:46]
	v_add_f64 v[41:42], v[57:58], -v[59:60]
	;; [unrolled: 1-line block ×6, first 2 shown]
	v_lshlrev_b32_e32 v47, 4, v47
	v_lshlrev_b32_sdwa v25, v53, v25 dst_sel:DWORD dst_unused:UNUSED_PAD src0_sel:DWORD src1_sel:BYTE_0
	ds_write_b128 v34, v[8:11]
	ds_write_b128 v34, v[12:15] offset:320
	ds_write_b128 v34, v[16:19] offset:64
	;; [unrolled: 1-line block ×9, first 2 shown]
	s_waitcnt lgkmcnt(0)
	s_barrier
	buffer_gl0_inv
	s_clause 0x8
	global_load_dwordx4 v[8:11], v47, s[8:9] offset:592
	global_load_dwordx4 v[12:15], v47, s[8:9] offset:624
	;; [unrolled: 1-line block ×9, first 2 shown]
	ds_read_b128 v[55:58], v54 offset:7680
	ds_read_b128 v[59:62], v54 offset:15360
	;; [unrolled: 1-line block ×9, first 2 shown]
	v_add3_u32 v24, 0, v24, v25
	s_waitcnt vmcnt(8) lgkmcnt(8)
	v_mul_f64 v[46:47], v[57:58], v[10:11]
	v_mul_f64 v[10:11], v[55:56], v[10:11]
	s_waitcnt vmcnt(7) lgkmcnt(7)
	v_mul_f64 v[91:92], v[61:62], v[14:15]
	v_mul_f64 v[14:15], v[59:60], v[14:15]
	;; [unrolled: 3-line block ×3, first 2 shown]
	s_waitcnt vmcnt(4) lgkmcnt(4)
	v_mul_f64 v[95:96], v[71:72], v[28:29]
	s_waitcnt vmcnt(3) lgkmcnt(3)
	v_mul_f64 v[97:98], v[75:76], v[32:33]
	v_mul_f64 v[28:29], v[73:74], v[28:29]
	;; [unrolled: 1-line block ×3, first 2 shown]
	v_fma_f64 v[46:47], v[55:56], v[8:9], v[46:47]
	v_fma_f64 v[55:56], v[57:58], v[8:9], -v[10:11]
	v_mul_f64 v[57:58], v[67:68], v[22:23]
	v_fma_f64 v[59:60], v[59:60], v[12:13], v[91:92]
	v_fma_f64 v[12:13], v[61:62], v[12:13], -v[14:15]
	s_waitcnt vmcnt(2) lgkmcnt(2)
	v_mul_f64 v[14:15], v[79:80], v[36:37]
	s_waitcnt vmcnt(1) lgkmcnt(1)
	v_mul_f64 v[61:62], v[85:86], v[40:41]
	v_mul_f64 v[40:41], v[83:84], v[40:41]
	s_waitcnt vmcnt(0) lgkmcnt(0)
	v_mul_f64 v[91:92], v[87:88], v[44:45]
	v_fma_f64 v[63:64], v[63:64], v[16:17], v[93:94]
	v_fma_f64 v[16:17], v[65:66], v[16:17], -v[18:19]
	v_mul_f64 v[18:19], v[69:70], v[22:23]
	v_mul_f64 v[22:23], v[81:82], v[36:37]
	v_fma_f64 v[65:66], v[77:78], v[30:31], -v[97:98]
	ds_read_b128 v[8:11], v54
	s_waitcnt lgkmcnt(0)
	s_barrier
	buffer_gl0_inv
	v_fma_f64 v[36:37], v[69:70], v[20:21], -v[57:58]
	v_fma_f64 v[57:58], v[73:74], v[26:27], -v[95:96]
	v_add_f64 v[69:70], v[46:47], -v[59:60]
	v_fma_f64 v[14:15], v[81:82], v[34:35], -v[14:15]
	v_fma_f64 v[61:62], v[83:84], v[38:39], v[61:62]
	v_fma_f64 v[38:39], v[85:86], v[38:39], -v[40:41]
	v_mul_f64 v[40:41], v[89:90], v[44:45]
	v_add_f64 v[44:45], v[12:13], v[16:17]
	v_fma_f64 v[18:19], v[67:68], v[20:21], v[18:19]
	v_fma_f64 v[20:21], v[79:80], v[34:35], v[22:23]
	;; [unrolled: 1-line block ×4, first 2 shown]
	v_fma_f64 v[28:29], v[89:90], v[42:43], -v[91:92]
	v_add_f64 v[73:74], v[8:9], v[46:47]
	v_add_f64 v[79:80], v[59:60], -v[46:47]
	v_add_f64 v[75:76], v[10:11], v[55:56]
	v_add_f64 v[30:31], v[57:58], v[65:66]
	v_add_f64 v[97:98], v[36:37], -v[57:58]
	v_add_f64 v[32:33], v[36:37], v[14:15]
	v_add_f64 v[71:72], v[61:62], -v[63:64]
	v_add_f64 v[67:68], v[55:56], v[38:39]
	v_fma_f64 v[34:35], v[87:88], v[42:43], v[40:41]
	v_add_f64 v[40:41], v[59:60], v[63:64]
	v_add_f64 v[42:43], v[46:47], v[61:62]
	v_add_f64 v[87:88], v[63:64], -v[61:62]
	v_add_f64 v[77:78], v[18:19], v[20:21]
	v_add_f64 v[85:86], v[18:19], -v[20:21]
	;; [unrolled: 2-line block ×3, first 2 shown]
	v_add_f64 v[89:90], v[18:19], -v[22:23]
	v_add_f64 v[91:92], v[20:21], -v[26:27]
	;; [unrolled: 1-line block ×7, first 2 shown]
	v_fma_f64 v[30:31], v[30:31], -0.5, v[28:29]
	v_fma_f64 v[32:33], v[32:33], -0.5, v[28:29]
	v_add_f64 v[28:29], v[28:29], v[36:37]
	v_add_f64 v[36:37], v[36:37], -v[14:15]
	v_add_f64 v[18:19], v[34:35], v[18:19]
	v_add_f64 v[69:70], v[69:70], v[71:72]
	v_fma_f64 v[40:41], v[40:41], -0.5, v[8:9]
	v_fma_f64 v[8:9], v[42:43], -0.5, v[8:9]
	;; [unrolled: 1-line block ×6, first 2 shown]
	v_add_f64 v[44:45], v[65:66], -v[14:15]
	v_add_f64 v[67:68], v[57:58], -v[65:66]
	v_add_f64 v[79:80], v[79:80], v[87:88]
	v_add_f64 v[87:88], v[59:60], -v[63:64]
	v_add_f64 v[89:90], v[89:90], v[91:92]
	;; [unrolled: 2-line block ×4, first 2 shown]
	v_fma_f64 v[71:72], v[85:86], s[0:1], v[30:31]
	v_fma_f64 v[30:31], v[85:86], s[12:13], v[30:31]
	;; [unrolled: 1-line block ×4, first 2 shown]
	v_add_f64 v[59:60], v[73:74], v[59:60]
	v_add_f64 v[18:19], v[18:19], v[22:23]
	;; [unrolled: 1-line block ×3, first 2 shown]
	v_fma_f64 v[73:74], v[36:37], s[12:13], v[34:35]
	v_fma_f64 v[34:35], v[36:37], s[0:1], v[34:35]
	v_add_f64 v[44:45], v[101:102], v[44:45]
	v_fma_f64 v[99:100], v[67:68], s[0:1], v[77:78]
	v_fma_f64 v[77:78], v[67:68], s[12:13], v[77:78]
	v_add_f64 v[101:102], v[55:56], -v[12:13]
	v_add_f64 v[55:56], v[12:13], -v[55:56]
	v_add_f64 v[12:13], v[75:76], v[12:13]
	v_fma_f64 v[28:29], v[91:92], s[12:13], v[40:41]
	v_fma_f64 v[40:41], v[91:92], s[0:1], v[40:41]
	;; [unrolled: 1-line block ×7, first 2 shown]
	v_add_f64 v[85:86], v[38:39], -v[16:17]
	v_fma_f64 v[8:9], v[95:96], s[12:13], v[8:9]
	v_fma_f64 v[75:76], v[46:47], s[0:1], v[42:43]
	;; [unrolled: 1-line block ×3, first 2 shown]
	v_add_f64 v[83:84], v[16:17], -v[38:39]
	v_add_f64 v[59:60], v[59:60], v[63:64]
	v_fma_f64 v[73:74], v[67:68], s[6:7], v[73:74]
	v_fma_f64 v[34:35], v[67:68], s[4:5], v[34:35]
	;; [unrolled: 1-line block ×6, first 2 shown]
	v_add_f64 v[12:13], v[12:13], v[16:17]
	v_add_f64 v[16:17], v[18:19], v[26:27]
	;; [unrolled: 1-line block ×3, first 2 shown]
	v_fma_f64 v[22:23], v[95:96], s[6:7], v[28:29]
	v_fma_f64 v[71:72], v[97:98], s[10:11], v[71:72]
	;; [unrolled: 1-line block ×5, first 2 shown]
	v_add_f64 v[44:45], v[101:102], v[85:86]
	v_fma_f64 v[26:27], v[95:96], s[4:5], v[40:41]
	v_fma_f64 v[8:9], v[91:92], s[4:5], v[8:9]
	;; [unrolled: 1-line block ×4, first 2 shown]
	v_add_f64 v[55:56], v[55:56], v[83:84]
	v_fma_f64 v[28:29], v[91:92], s[6:7], v[57:58]
	v_fma_f64 v[63:64], v[89:90], s[10:11], v[73:74]
	;; [unrolled: 1-line block ×3, first 2 shown]
	v_add_f64 v[59:60], v[59:60], v[61:62]
	v_fma_f64 v[65:66], v[93:94], s[10:11], v[99:100]
	v_fma_f64 v[36:37], v[93:94], s[10:11], v[36:37]
	;; [unrolled: 1-line block ×4, first 2 shown]
	v_add_f64 v[12:13], v[12:13], v[38:39]
	v_add_f64 v[16:17], v[16:17], v[20:21]
	;; [unrolled: 1-line block ×3, first 2 shown]
	v_fma_f64 v[18:19], v[69:70], s[10:11], v[22:23]
	v_mul_f64 v[67:68], v[71:72], s[6:7]
	v_mul_f64 v[71:72], v[71:72], s[14:15]
	;; [unrolled: 1-line block ×8, first 2 shown]
	v_fma_f64 v[20:21], v[69:70], s[10:11], v[26:27]
	v_fma_f64 v[61:62], v[79:80], s[10:11], v[8:9]
	;; [unrolled: 1-line block ×5, first 2 shown]
	v_add_f64 v[26:27], v[59:60], v[16:17]
	v_add_f64 v[28:29], v[12:13], v[14:15]
	v_fma_f64 v[8:9], v[63:64], s[14:15], v[67:68]
	v_fma_f64 v[44:45], v[63:64], s[4:5], v[71:72]
	;; [unrolled: 1-line block ×10, first 2 shown]
	v_add_f64 v[30:31], v[59:60], -v[16:17]
	v_add_f64 v[32:33], v[12:13], -v[14:15]
	v_cmp_gt_u32_e64 s0, 0xa0, v48
	v_add_f64 v[34:35], v[18:19], v[8:9]
	v_add_f64 v[36:37], v[40:41], v[44:45]
	;; [unrolled: 1-line block ×3, first 2 shown]
	v_add_f64 v[10:11], v[40:41], -v[44:45]
	v_add_f64 v[40:41], v[63:64], v[65:66]
	v_add_f64 v[42:43], v[61:62], v[73:74]
	v_add_f64 v[8:9], v[18:19], -v[8:9]
	v_add_f64 v[44:45], v[71:72], v[75:76]
	v_add_f64 v[55:56], v[20:21], v[46:47]
	;; [unrolled: 1-line block ×3, first 2 shown]
	v_add_f64 v[12:13], v[22:23], -v[67:68]
	v_add_f64 v[14:15], v[63:64], -v[65:66]
	;; [unrolled: 1-line block ×6, first 2 shown]
	ds_write_b128 v24, v[26:29]
	ds_write_b128 v24, v[30:33] offset:3200
	ds_write_b128 v24, v[34:37] offset:640
	;; [unrolled: 1-line block ×9, first 2 shown]
	s_waitcnt lgkmcnt(0)
	s_barrier
	buffer_gl0_inv
	ds_read_b128 v[24:27], v54
	ds_read_b128 v[28:31], v54 offset:6400
	ds_read_b128 v[32:35], v54 offset:12800
	;; [unrolled: 1-line block ×5, first 2 shown]
	s_and_saveexec_b32 s1, s0
	s_cbranch_execz .LBB0_21
; %bb.20:
	ds_read_b128 v[12:15], v54 offset:10240
	ds_read_b128 v[16:19], v54 offset:16640
	;; [unrolled: 1-line block ×6, first 2 shown]
.LBB0_21:
	s_or_b32 exec_lo, exec_lo, s1
	v_mul_u32_u24_e32 v49, 5, v48
	s_mov_b32 s4, 0xe8584caa
	s_mov_b32 s5, 0xbfebb67a
	;; [unrolled: 1-line block ×4, first 2 shown]
	v_lshlrev_b32_e32 v49, 4, v49
	v_add_co_u32 v49, s1, s8, v49
	v_add_co_ci_u32_e64 v53, null, s9, 0, s1
	v_add_co_u32 v71, s1, 0x18c0, v49
	v_add_co_ci_u32_e64 v72, s1, 0, v53, s1
	v_add_co_u32 v63, s1, 0x1800, v49
	v_add_co_ci_u32_e64 v64, s1, 0, v53, s1
	s_clause 0x4
	global_load_dwordx4 v[55:58], v[71:72], off offset:32
	global_load_dwordx4 v[59:62], v[63:64], off offset:256
	;; [unrolled: 1-line block ×5, first 2 shown]
	s_waitcnt vmcnt(0) lgkmcnt(0)
	s_barrier
	buffer_gl0_inv
	v_mul_f64 v[75:76], v[40:41], v[57:58]
	v_mul_f64 v[77:78], v[44:45], v[61:62]
	;; [unrolled: 1-line block ×6, first 2 shown]
	v_fma_f64 v[42:43], v[42:43], v[55:56], -v[75:76]
	v_fma_f64 v[46:47], v[46:47], v[59:60], -v[77:78]
	v_mul_f64 v[75:76], v[34:35], v[69:70]
	v_mul_f64 v[69:70], v[32:33], v[69:70]
	;; [unrolled: 1-line block ×4, first 2 shown]
	v_fma_f64 v[40:41], v[40:41], v[55:56], v[57:58]
	v_fma_f64 v[44:45], v[44:45], v[59:60], v[61:62]
	v_fma_f64 v[30:31], v[30:31], v[63:64], -v[79:80]
	v_fma_f64 v[28:29], v[28:29], v[63:64], v[65:66]
	v_add_f64 v[55:56], v[42:43], v[46:47]
	v_fma_f64 v[32:33], v[32:33], v[67:68], v[75:76]
	v_fma_f64 v[34:35], v[34:35], v[67:68], -v[69:70]
	v_fma_f64 v[36:37], v[36:37], v[71:72], v[77:78]
	v_fma_f64 v[38:39], v[38:39], v[71:72], -v[73:74]
	v_add_f64 v[65:66], v[42:43], -v[46:47]
	v_add_f64 v[57:58], v[40:41], v[44:45]
	v_add_f64 v[59:60], v[40:41], -v[44:45]
	v_fma_f64 v[55:56], v[55:56], -0.5, v[30:31]
	v_add_f64 v[30:31], v[30:31], v[42:43]
	v_add_f64 v[61:62], v[32:33], v[36:37]
	;; [unrolled: 1-line block ×3, first 2 shown]
	v_add_f64 v[69:70], v[34:35], -v[38:39]
	v_fma_f64 v[57:58], v[57:58], -0.5, v[28:29]
	v_add_f64 v[34:35], v[26:27], v[34:35]
	v_add_f64 v[28:29], v[28:29], v[40:41]
	v_fma_f64 v[67:68], v[59:60], s[6:7], v[55:56]
	v_fma_f64 v[55:56], v[59:60], s[4:5], v[55:56]
	v_add_f64 v[59:60], v[24:25], v[32:33]
	v_add_f64 v[32:33], v[32:33], -v[36:37]
	v_fma_f64 v[24:25], v[61:62], -0.5, v[24:25]
	v_fma_f64 v[26:27], v[63:64], -0.5, v[26:27]
	v_fma_f64 v[40:41], v[65:66], s[4:5], v[57:58]
	v_fma_f64 v[42:43], v[65:66], s[6:7], v[57:58]
	v_add_f64 v[34:35], v[34:35], v[38:39]
	v_add_f64 v[38:39], v[28:29], v[44:45]
	;; [unrolled: 1-line block ×3, first 2 shown]
	v_mul_f64 v[57:58], v[67:68], s[4:5]
	v_mul_f64 v[63:64], v[67:68], 0.5
	v_mul_f64 v[61:62], v[55:56], s[4:5]
	v_mul_f64 v[55:56], v[55:56], -0.5
	v_add_f64 v[36:37], v[59:60], v[36:37]
	v_fma_f64 v[46:47], v[69:70], s[4:5], v[24:25]
	v_fma_f64 v[59:60], v[32:33], s[6:7], v[26:27]
	;; [unrolled: 1-line block ×4, first 2 shown]
	v_add_f64 v[28:29], v[34:35], v[44:45]
	v_add_f64 v[32:33], v[34:35], -v[44:45]
	v_fma_f64 v[57:58], v[40:41], 0.5, v[57:58]
	v_fma_f64 v[63:64], v[40:41], s[6:7], v[63:64]
	v_fma_f64 v[61:62], v[42:43], -0.5, v[61:62]
	v_fma_f64 v[67:68], v[42:43], s[6:7], v[55:56]
	v_add_f64 v[26:27], v[36:37], v[38:39]
	v_add_f64 v[30:31], v[36:37], -v[38:39]
	v_add_f64 v[34:35], v[46:47], v[57:58]
	v_add_f64 v[36:37], v[59:60], v[63:64]
	;; [unrolled: 1-line block ×4, first 2 shown]
	v_add_f64 v[42:43], v[46:47], -v[57:58]
	v_add_f64 v[44:45], v[59:60], -v[63:64]
	v_add_f64 v[55:56], v[24:25], -v[61:62]
	v_add_f64 v[57:58], v[65:66], -v[67:68]
	v_mov_b32_e32 v25, 0
	ds_write_b128 v54, v[26:29]
	ds_write_b128 v54, v[30:33] offset:19200
	ds_write_b128 v54, v[34:37] offset:6400
	;; [unrolled: 1-line block ×5, first 2 shown]
	s_and_saveexec_b32 s1, s0
	s_cbranch_execz .LBB0_23
; %bb.22:
	v_add_nc_u32_e32 v24, 0xffffff60, v48
	v_cndmask_b32_e64 v24, v24, v52, s0
	v_mul_i32_i24_e32 v24, 5, v24
	v_lshlrev_b64 v[24:25], 4, v[24:25]
	v_add_co_u32 v24, s0, s8, v24
	v_add_co_ci_u32_e64 v25, s0, s9, v25, s0
	v_add_co_u32 v40, s0, 0x18c0, v24
	v_add_co_ci_u32_e64 v41, s0, 0, v25, s0
	;; [unrolled: 2-line block ×3, first 2 shown]
	s_clause 0x4
	global_load_dwordx4 v[24:27], v[40:41], off offset:32
	global_load_dwordx4 v[28:31], v[32:33], off offset:256
	;; [unrolled: 1-line block ×5, first 2 shown]
	s_waitcnt vmcnt(4)
	v_mul_f64 v[44:45], v[20:21], v[26:27]
	s_waitcnt vmcnt(3)
	v_mul_f64 v[46:47], v[4:5], v[30:31]
	v_mul_f64 v[26:27], v[22:23], v[26:27]
	;; [unrolled: 1-line block ×3, first 2 shown]
	s_waitcnt vmcnt(2)
	v_mul_f64 v[52:53], v[12:13], v[34:35]
	v_mul_f64 v[34:35], v[14:15], v[34:35]
	v_fma_f64 v[22:23], v[22:23], v[24:25], -v[44:45]
	v_fma_f64 v[6:7], v[6:7], v[28:29], -v[46:47]
	s_waitcnt vmcnt(1)
	v_mul_f64 v[44:45], v[16:17], v[38:39]
	s_waitcnt vmcnt(0)
	v_mul_f64 v[46:47], v[0:1], v[42:43]
	v_fma_f64 v[20:21], v[20:21], v[24:25], v[26:27]
	v_fma_f64 v[4:5], v[4:5], v[28:29], v[30:31]
	v_fma_f64 v[14:15], v[14:15], v[32:33], -v[52:53]
	v_mul_f64 v[26:27], v[18:19], v[38:39]
	v_mul_f64 v[28:29], v[2:3], v[42:43]
	v_fma_f64 v[12:13], v[12:13], v[32:33], v[34:35]
	v_add_f64 v[24:25], v[22:23], v[6:7]
	v_fma_f64 v[18:19], v[18:19], v[36:37], -v[44:45]
	v_fma_f64 v[2:3], v[2:3], v[40:41], -v[46:47]
	v_add_f64 v[30:31], v[20:21], v[4:5]
	v_add_f64 v[32:33], v[20:21], -v[4:5]
	v_fma_f64 v[16:17], v[16:17], v[36:37], v[26:27]
	v_fma_f64 v[0:1], v[0:1], v[40:41], v[28:29]
	v_add_f64 v[28:29], v[22:23], -v[6:7]
	v_fma_f64 v[24:25], v[24:25], -0.5, v[14:15]
	v_add_f64 v[38:39], v[10:11], v[18:19]
	v_add_f64 v[26:27], v[18:19], v[2:3]
	;; [unrolled: 1-line block ×3, first 2 shown]
	v_fma_f64 v[30:31], v[30:31], -0.5, v[12:13]
	v_add_f64 v[12:13], v[12:13], v[20:21]
	v_add_f64 v[18:19], v[18:19], -v[2:3]
	v_add_f64 v[36:37], v[16:17], -v[0:1]
	v_fma_f64 v[34:35], v[32:33], s[4:5], v[24:25]
	v_fma_f64 v[24:25], v[32:33], s[6:7], v[24:25]
	v_add_f64 v[32:33], v[16:17], v[0:1]
	v_add_f64 v[16:17], v[8:9], v[16:17]
	v_fma_f64 v[10:11], v[26:27], -0.5, v[10:11]
	v_fma_f64 v[20:21], v[28:29], s[6:7], v[30:31]
	v_fma_f64 v[22:23], v[28:29], s[4:5], v[30:31]
	v_add_f64 v[6:7], v[14:15], v[6:7]
	v_add_f64 v[4:5], v[12:13], v[4:5]
	v_mul_f64 v[26:27], v[34:35], -0.5
	v_mul_f64 v[28:29], v[24:25], 0.5
	v_fma_f64 v[8:9], v[32:33], -0.5, v[8:9]
	v_mul_f64 v[24:25], v[24:25], s[4:5]
	v_mul_f64 v[30:31], v[34:35], s[4:5]
	v_add_f64 v[32:33], v[38:39], v[2:3]
	v_add_f64 v[14:15], v[16:17], v[0:1]
	v_fma_f64 v[16:17], v[36:37], s[6:7], v[10:11]
	v_fma_f64 v[12:13], v[36:37], s[4:5], v[10:11]
	v_fma_f64 v[26:27], v[20:21], s[6:7], v[26:27]
	v_fma_f64 v[28:29], v[22:23], s[6:7], v[28:29]
	v_fma_f64 v[34:35], v[18:19], s[6:7], v[8:9]
	v_fma_f64 v[8:9], v[18:19], s[4:5], v[8:9]
	v_fma_f64 v[24:25], v[22:23], 0.5, v[24:25]
	v_fma_f64 v[30:31], v[20:21], -0.5, v[30:31]
	v_add_f64 v[2:3], v[32:33], -v[6:7]
	v_add_f64 v[0:1], v[14:15], -v[4:5]
	v_add_f64 v[6:7], v[32:33], v[6:7]
	v_add_f64 v[4:5], v[14:15], v[4:5]
	;; [unrolled: 1-line block ×4, first 2 shown]
	v_add_f64 v[14:15], v[16:17], -v[28:29]
	v_add_f64 v[10:11], v[12:13], -v[26:27]
	v_add_f64 v[20:21], v[8:9], v[24:25]
	v_add_f64 v[16:17], v[34:35], v[30:31]
	v_add_f64 v[12:13], v[8:9], -v[24:25]
	v_add_f64 v[8:9], v[34:35], -v[30:31]
	ds_write_b128 v54, v[4:7] offset:3840
	ds_write_b128 v54, v[0:3] offset:23040
	;; [unrolled: 1-line block ×6, first 2 shown]
.LBB0_23:
	s_or_b32 exec_lo, exec_lo, s1
	s_waitcnt lgkmcnt(0)
	s_barrier
	buffer_gl0_inv
	s_and_saveexec_b32 s0, vcc_lo
	s_cbranch_execz .LBB0_25
; %bb.24:
	v_lshl_add_u32 v30, v48, 4, 0
	v_mov_b32_e32 v49, 0
	v_add_co_u32 v31, vcc_lo, s2, v50
	v_add_nc_u32_e32 v8, 0xf0, v48
	ds_read_b128 v[0:3], v30
	ds_read_b128 v[4:7], v30 offset:34560
	v_lshlrev_b64 v[10:11], 4, v[48:49]
	v_mov_b32_e32 v9, v49
	v_add_co_ci_u32_e32 v32, vcc_lo, s3, v51, vcc_lo
	v_add_nc_u32_e32 v12, 0x1e0, v48
	v_add_nc_u32_e32 v14, 0x2d0, v48
	v_lshlrev_b64 v[8:9], 4, v[8:9]
	v_add_co_u32 v10, vcc_lo, v31, v10
	v_add_co_ci_u32_e32 v11, vcc_lo, v32, v11, vcc_lo
	v_mov_b32_e32 v13, v49
	v_mov_b32_e32 v15, v49
	v_add_co_u32 v20, vcc_lo, v31, v8
	v_add_co_ci_u32_e32 v21, vcc_lo, v32, v9, vcc_lo
	v_lshlrev_b64 v[22:23], 4, v[12:13]
	s_waitcnt lgkmcnt(1)
	global_store_dwordx4 v[10:11], v[0:3], off
	ds_read_b128 v[0:3], v30 offset:3840
	ds_read_b128 v[8:11], v30 offset:7680
	v_lshlrev_b64 v[24:25], 4, v[14:15]
	ds_read_b128 v[12:15], v30 offset:11520
	ds_read_b128 v[16:19], v30 offset:15360
	v_add_nc_u32_e32 v26, 0x3c0, v48
	v_mov_b32_e32 v27, v49
	v_add_co_u32 v22, vcc_lo, v31, v22
	v_add_co_ci_u32_e32 v23, vcc_lo, v32, v23, vcc_lo
	v_lshlrev_b64 v[26:27], 4, v[26:27]
	v_add_co_u32 v24, vcc_lo, v31, v24
	v_add_co_ci_u32_e32 v25, vcc_lo, v32, v25, vcc_lo
	v_add_nc_u32_e32 v28, 0x4b0, v48
	v_mov_b32_e32 v29, v49
	v_add_co_u32 v26, vcc_lo, v31, v26
	v_add_co_ci_u32_e32 v27, vcc_lo, v32, v27, vcc_lo
	s_waitcnt lgkmcnt(3)
	global_store_dwordx4 v[20:21], v[0:3], off
	s_waitcnt lgkmcnt(2)
	global_store_dwordx4 v[22:23], v[8:11], off
	;; [unrolled: 2-line block ×4, first 2 shown]
	v_lshlrev_b64 v[0:1], 4, v[28:29]
	v_add_nc_u32_e32 v12, 0x5a0, v48
	v_mov_b32_e32 v13, v49
	v_add_nc_u32_e32 v14, 0x690, v48
	v_mov_b32_e32 v15, v49
	v_add_nc_u32_e32 v26, 0x780, v48
	v_add_co_u32 v20, vcc_lo, v31, v0
	v_add_co_ci_u32_e32 v21, vcc_lo, v32, v1, vcc_lo
	ds_read_b128 v[0:3], v30 offset:19200
	ds_read_b128 v[8:11], v30 offset:23040
	v_lshlrev_b64 v[22:23], 4, v[12:13]
	v_lshlrev_b64 v[24:25], 4, v[14:15]
	ds_read_b128 v[12:15], v30 offset:26880
	ds_read_b128 v[16:19], v30 offset:30720
	v_mov_b32_e32 v27, v49
	v_add_nc_u32_e32 v48, 0x870, v48
	v_add_co_u32 v22, vcc_lo, v31, v22
	v_lshlrev_b64 v[26:27], 4, v[26:27]
	v_add_co_ci_u32_e32 v23, vcc_lo, v32, v23, vcc_lo
	v_add_co_u32 v24, vcc_lo, v31, v24
	v_lshlrev_b64 v[28:29], 4, v[48:49]
	v_add_co_ci_u32_e32 v25, vcc_lo, v32, v25, vcc_lo
	v_add_co_u32 v26, vcc_lo, v31, v26
	v_add_co_ci_u32_e32 v27, vcc_lo, v32, v27, vcc_lo
	v_add_co_u32 v28, vcc_lo, v31, v28
	v_add_co_ci_u32_e32 v29, vcc_lo, v32, v29, vcc_lo
	s_waitcnt lgkmcnt(3)
	global_store_dwordx4 v[20:21], v[0:3], off
	s_waitcnt lgkmcnt(2)
	global_store_dwordx4 v[22:23], v[8:11], off
	s_waitcnt lgkmcnt(1)
	global_store_dwordx4 v[24:25], v[12:15], off
	s_waitcnt lgkmcnt(0)
	global_store_dwordx4 v[26:27], v[16:19], off
	global_store_dwordx4 v[28:29], v[4:7], off
.LBB0_25:
	s_endpgm
	.section	.rodata,"a",@progbits
	.p2align	6, 0x0
	.amdhsa_kernel fft_rtc_back_len2400_factors_4_10_10_6_wgs_240_tpt_240_halfLds_dp_ip_CI_unitstride_sbrr_C2R_dirReg
		.amdhsa_group_segment_fixed_size 0
		.amdhsa_private_segment_fixed_size 0
		.amdhsa_kernarg_size 88
		.amdhsa_user_sgpr_count 6
		.amdhsa_user_sgpr_private_segment_buffer 1
		.amdhsa_user_sgpr_dispatch_ptr 0
		.amdhsa_user_sgpr_queue_ptr 0
		.amdhsa_user_sgpr_kernarg_segment_ptr 1
		.amdhsa_user_sgpr_dispatch_id 0
		.amdhsa_user_sgpr_flat_scratch_init 0
		.amdhsa_user_sgpr_private_segment_size 0
		.amdhsa_wavefront_size32 1
		.amdhsa_uses_dynamic_stack 0
		.amdhsa_system_sgpr_private_segment_wavefront_offset 0
		.amdhsa_system_sgpr_workgroup_id_x 1
		.amdhsa_system_sgpr_workgroup_id_y 0
		.amdhsa_system_sgpr_workgroup_id_z 0
		.amdhsa_system_sgpr_workgroup_info 0
		.amdhsa_system_vgpr_workitem_id 0
		.amdhsa_next_free_vgpr 105
		.amdhsa_next_free_sgpr 21
		.amdhsa_reserve_vcc 1
		.amdhsa_reserve_flat_scratch 0
		.amdhsa_float_round_mode_32 0
		.amdhsa_float_round_mode_16_64 0
		.amdhsa_float_denorm_mode_32 3
		.amdhsa_float_denorm_mode_16_64 3
		.amdhsa_dx10_clamp 1
		.amdhsa_ieee_mode 1
		.amdhsa_fp16_overflow 0
		.amdhsa_workgroup_processor_mode 1
		.amdhsa_memory_ordered 1
		.amdhsa_forward_progress 0
		.amdhsa_shared_vgpr_count 0
		.amdhsa_exception_fp_ieee_invalid_op 0
		.amdhsa_exception_fp_denorm_src 0
		.amdhsa_exception_fp_ieee_div_zero 0
		.amdhsa_exception_fp_ieee_overflow 0
		.amdhsa_exception_fp_ieee_underflow 0
		.amdhsa_exception_fp_ieee_inexact 0
		.amdhsa_exception_int_div_zero 0
	.end_amdhsa_kernel
	.text
.Lfunc_end0:
	.size	fft_rtc_back_len2400_factors_4_10_10_6_wgs_240_tpt_240_halfLds_dp_ip_CI_unitstride_sbrr_C2R_dirReg, .Lfunc_end0-fft_rtc_back_len2400_factors_4_10_10_6_wgs_240_tpt_240_halfLds_dp_ip_CI_unitstride_sbrr_C2R_dirReg
                                        ; -- End function
	.section	.AMDGPU.csdata,"",@progbits
; Kernel info:
; codeLenInByte = 9296
; NumSgprs: 23
; NumVgprs: 105
; ScratchSize: 0
; MemoryBound: 0
; FloatMode: 240
; IeeeMode: 1
; LDSByteSize: 0 bytes/workgroup (compile time only)
; SGPRBlocks: 2
; VGPRBlocks: 13
; NumSGPRsForWavesPerEU: 23
; NumVGPRsForWavesPerEU: 105
; Occupancy: 9
; WaveLimiterHint : 1
; COMPUTE_PGM_RSRC2:SCRATCH_EN: 0
; COMPUTE_PGM_RSRC2:USER_SGPR: 6
; COMPUTE_PGM_RSRC2:TRAP_HANDLER: 0
; COMPUTE_PGM_RSRC2:TGID_X_EN: 1
; COMPUTE_PGM_RSRC2:TGID_Y_EN: 0
; COMPUTE_PGM_RSRC2:TGID_Z_EN: 0
; COMPUTE_PGM_RSRC2:TIDIG_COMP_CNT: 0
	.text
	.p2alignl 6, 3214868480
	.fill 48, 4, 3214868480
	.type	__hip_cuid_39753728b0764b9a,@object ; @__hip_cuid_39753728b0764b9a
	.section	.bss,"aw",@nobits
	.globl	__hip_cuid_39753728b0764b9a
__hip_cuid_39753728b0764b9a:
	.byte	0                               ; 0x0
	.size	__hip_cuid_39753728b0764b9a, 1

	.ident	"AMD clang version 19.0.0git (https://github.com/RadeonOpenCompute/llvm-project roc-6.4.0 25133 c7fe45cf4b819c5991fe208aaa96edf142730f1d)"
	.section	".note.GNU-stack","",@progbits
	.addrsig
	.addrsig_sym __hip_cuid_39753728b0764b9a
	.amdgpu_metadata
---
amdhsa.kernels:
  - .args:
      - .actual_access:  read_only
        .address_space:  global
        .offset:         0
        .size:           8
        .value_kind:     global_buffer
      - .offset:         8
        .size:           8
        .value_kind:     by_value
      - .actual_access:  read_only
        .address_space:  global
        .offset:         16
        .size:           8
        .value_kind:     global_buffer
      - .actual_access:  read_only
        .address_space:  global
        .offset:         24
        .size:           8
        .value_kind:     global_buffer
      - .offset:         32
        .size:           8
        .value_kind:     by_value
      - .actual_access:  read_only
        .address_space:  global
        .offset:         40
        .size:           8
        .value_kind:     global_buffer
      - .actual_access:  read_only
        .address_space:  global
        .offset:         48
        .size:           8
        .value_kind:     global_buffer
      - .offset:         56
        .size:           4
        .value_kind:     by_value
      - .actual_access:  read_only
        .address_space:  global
        .offset:         64
        .size:           8
        .value_kind:     global_buffer
      - .actual_access:  read_only
        .address_space:  global
        .offset:         72
        .size:           8
        .value_kind:     global_buffer
      - .address_space:  global
        .offset:         80
        .size:           8
        .value_kind:     global_buffer
    .group_segment_fixed_size: 0
    .kernarg_segment_align: 8
    .kernarg_segment_size: 88
    .language:       OpenCL C
    .language_version:
      - 2
      - 0
    .max_flat_workgroup_size: 240
    .name:           fft_rtc_back_len2400_factors_4_10_10_6_wgs_240_tpt_240_halfLds_dp_ip_CI_unitstride_sbrr_C2R_dirReg
    .private_segment_fixed_size: 0
    .sgpr_count:     23
    .sgpr_spill_count: 0
    .symbol:         fft_rtc_back_len2400_factors_4_10_10_6_wgs_240_tpt_240_halfLds_dp_ip_CI_unitstride_sbrr_C2R_dirReg.kd
    .uniform_work_group_size: 1
    .uses_dynamic_stack: false
    .vgpr_count:     105
    .vgpr_spill_count: 0
    .wavefront_size: 32
    .workgroup_processor_mode: 1
amdhsa.target:   amdgcn-amd-amdhsa--gfx1030
amdhsa.version:
  - 1
  - 2
...

	.end_amdgpu_metadata
